;; amdgpu-corpus repo=ROCm/rocFFT kind=compiled arch=gfx1201 opt=O3
	.text
	.amdgcn_target "amdgcn-amd-amdhsa--gfx1201"
	.amdhsa_code_object_version 6
	.protected	fft_rtc_back_len49_factors_7_7_wgs_196_tpt_7_sp_op_CI_CI_sbrc_erc_z_xy_unaligned ; -- Begin function fft_rtc_back_len49_factors_7_7_wgs_196_tpt_7_sp_op_CI_CI_sbrc_erc_z_xy_unaligned
	.globl	fft_rtc_back_len49_factors_7_7_wgs_196_tpt_7_sp_op_CI_CI_sbrc_erc_z_xy_unaligned
	.p2align	8
	.type	fft_rtc_back_len49_factors_7_7_wgs_196_tpt_7_sp_op_CI_CI_sbrc_erc_z_xy_unaligned,@function
fft_rtc_back_len49_factors_7_7_wgs_196_tpt_7_sp_op_CI_CI_sbrc_erc_z_xy_unaligned: ; @fft_rtc_back_len49_factors_7_7_wgs_196_tpt_7_sp_op_CI_CI_sbrc_erc_z_xy_unaligned
; %bb.0:
	s_clause 0x1
	s_load_b256 s[4:11], s[0:1], 0x0
	s_load_b64 s[20:21], s[0:1], 0x20
	s_wait_kmcnt 0x0
	s_load_b128 s[12:15], s[8:9], 0x8
	s_load_b32 s28, s[10:11], 0x10
	s_wait_kmcnt 0x0
	s_add_co_i32 s2, s12, -1
	s_delay_alu instid0(SALU_CYCLE_1) | instskip(NEXT) | instid1(SALU_CYCLE_1)
	s_lshr_b32 s2, s2, 2
	s_mul_hi_u32 s2, s2, 0x24924925
	s_delay_alu instid0(SALU_CYCLE_1) | instskip(NEXT) | instid1(SALU_CYCLE_1)
	s_add_co_i32 s3, s2, 1
	s_mul_i32 s8, s3, s14
	s_cvt_f32_u32 s13, s3
	s_cvt_f32_u32 s9, s8
	s_sub_co_i32 s14, 0, s8
	s_delay_alu instid0(SALU_CYCLE_2) | instskip(NEXT) | instid1(TRANS32_DEP_1)
	v_rcp_iflag_f32_e32 v1, s9
	v_readfirstlane_b32 s9, v1
	v_rcp_iflag_f32_e32 v1, s13
	s_delay_alu instid0(VALU_DEP_1) | instskip(SKIP_1) | instid1(SALU_CYCLE_2)
	s_mul_f32 s9, s9, 0x4f7ffffe
	s_wait_alu 0xfffe
	s_cvt_u32_f32 s9, s9
	s_wait_alu 0xfffe
	s_delay_alu instid0(SALU_CYCLE_2) | instskip(NEXT) | instid1(SALU_CYCLE_1)
	s_mul_i32 s14, s14, s9
	s_mul_hi_u32 s13, s9, s14
	s_delay_alu instid0(TRANS32_DEP_1)
	v_readfirstlane_b32 s14, v1
	s_wait_alu 0xfffe
	s_add_co_i32 s9, s9, s13
	v_mul_u32_u24_e32 v1, 0x53a, v0
	s_wait_alu 0xfffe
	s_mul_hi_u32 s9, ttmp9, s9
	s_mul_f32 s14, s14, 0x4f7ffffe
	s_wait_alu 0xfffe
	s_mul_i32 s13, s9, s8
	s_add_co_i32 s15, s9, 1
	s_wait_alu 0xfffe
	s_sub_co_i32 s13, ttmp9, s13
	v_lshrrev_b32_e32 v1, 16, v1
	s_wait_alu 0xfffe
	s_sub_co_i32 s16, s13, s8
	s_cmp_ge_u32 s13, s8
	s_cselect_b32 s9, s15, s9
	s_cselect_b32 s13, s16, s13
	s_wait_alu 0xfffe
	s_add_co_i32 s15, s9, 1
	s_cmp_ge_u32 s13, s8
	s_cvt_u32_f32 s13, s14
	s_cselect_b32 s14, s15, s9
	s_not_b32 s2, s2
	s_mul_i32 s8, s14, s8
	s_wait_alu 0xfffe
	s_mul_i32 s2, s2, s13
	s_sub_co_i32 s8, ttmp9, s8
	s_mul_hi_u32 s2, s13, s2
	s_load_b128 s[16:19], s[10:11], 0x0
	s_add_co_i32 s13, s13, s2
	v_mul_lo_u16 v2, v1, 49
	s_wait_alu 0xfffe
	s_mul_hi_u32 s2, s8, s13
	s_mul_hi_u32 s13, ttmp9, s13
	s_mul_i32 s9, s2, s3
	s_wait_alu 0xfffe
	s_sub_co_i32 s8, s8, s9
	s_add_co_i32 s9, s2, 1
	s_wait_alu 0xfffe
	s_sub_co_i32 s15, s8, s3
	s_cmp_ge_u32 s8, s3
	v_sub_nc_u16 v2, v0, v2
	s_cselect_b32 s2, s9, s2
	s_cselect_b32 s8, s15, s8
	s_add_co_i32 s9, s2, 1
	s_wait_alu 0xfffe
	s_cmp_ge_u32 s8, s3
	s_mul_i32 s8, s13, s3
	s_cselect_b32 s13, s9, s2
	s_wait_alu 0xfffe
	s_sub_co_i32 s2, ttmp9, s8
	s_mov_b32 s15, 0
	s_sub_co_i32 s8, s2, s3
	s_cmp_ge_u32 s2, s3
	v_and_b32_e32 v2, 0xffff, v2
	s_wait_alu 0xfffe
	s_cselect_b32 s2, s8, s2
	s_mov_b32 s29, s15
	s_sub_co_i32 s8, s2, s3
	s_cmp_ge_u32 s2, s3
	s_wait_kmcnt 0x0
	s_wait_alu 0xfffe
	s_cselect_b32 s19, s8, s2
	s_lshl_b64 s[24:25], s[6:7], 3
	s_mul_i32 s6, s19, 28
	s_add_nc_u64 s[2:3], s[10:11], s[24:25]
	s_add_co_i32 s19, s6, 28
	s_load_b64 s[26:27], s[2:3], 0x0
	s_load_b64 s[22:23], s[0:1], 0x58
	s_clause 0x1
	s_load_b128 s[8:11], s[20:21], 0x0
	s_load_b64 s[2:3], s[20:21], 0x10
	s_wait_kmcnt 0x0
	s_mul_i32 s3, s13, s28
	s_mul_i32 s11, s6, s18
	s_add_nc_u64 s[20:21], s[20:21], s[24:25]
	s_add_co_i32 s28, s11, s3
	s_cmp_le_u32 s19, s12
	s_mov_b32 s7, -1
	s_cselect_b32 s3, -1, 0
	s_delay_alu instid0(SALU_CYCLE_1) | instskip(SKIP_1) | instid1(SALU_CYCLE_1)
	s_and_b32 vcc_lo, exec_lo, s3
	s_mul_u64 s[24:25], s[26:27], s[14:15]
	s_add_nc_u64 s[24:25], s[24:25], s[28:29]
	s_cbranch_vccz .LBB0_2
; %bb.1:
	v_mul_lo_u32 v5, s18, v1
	s_lshl_b32 s7, s18, 2
	v_mov_b32_e32 v6, 0
	v_mad_co_u64_u32 v[3:4], null, s16, v2, 0
	s_lshl_b64 s[26:27], s[24:25], 3
	s_delay_alu instid0(SALU_CYCLE_1) | instskip(NEXT) | instid1(VALU_DEP_2)
	s_add_nc_u64 s[26:27], s[22:23], s[26:27]
	v_lshlrev_b64_e32 v[7:8], 3, v[5:6]
	v_add_nc_u32_e32 v5, s7, v5
	s_delay_alu instid0(VALU_DEP_1) | instskip(SKIP_1) | instid1(VALU_DEP_2)
	v_mad_co_u64_u32 v[9:10], null, s17, v2, v[4:5]
	v_lshlrev_b64_e32 v[10:11], 3, v[5:6]
	v_dual_mov_b32 v4, v9 :: v_dual_add_nc_u32 v5, s7, v5
	s_delay_alu instid0(VALU_DEP_1) | instskip(SKIP_1) | instid1(VALU_DEP_3)
	v_lshlrev_b64_e32 v[12:13], 3, v[5:6]
	v_add_nc_u32_e32 v5, s7, v5
	v_lshlrev_b64_e32 v[3:4], 3, v[3:4]
	s_delay_alu instid0(VALU_DEP_2) | instskip(SKIP_1) | instid1(VALU_DEP_3)
	v_lshlrev_b64_e32 v[14:15], 3, v[5:6]
	v_add_nc_u32_e32 v5, s7, v5
	v_add_co_u32 v18, vcc_lo, s26, v3
	s_delay_alu instid0(VALU_DEP_4) | instskip(NEXT) | instid1(VALU_DEP_3)
	v_add_co_ci_u32_e32 v19, vcc_lo, s27, v4, vcc_lo
	v_lshlrev_b64_e32 v[16:17], 3, v[5:6]
	s_delay_alu instid0(VALU_DEP_3) | instskip(SKIP_1) | instid1(VALU_DEP_3)
	v_add_co_u32 v3, vcc_lo, v18, v7
	s_wait_alu 0xfffd
	v_add_co_ci_u32_e32 v4, vcc_lo, v19, v8, vcc_lo
	v_add_co_u32 v7, vcc_lo, v18, v10
	v_add_nc_u32_e32 v5, s7, v5
	s_wait_alu 0xfffd
	v_add_co_ci_u32_e32 v8, vcc_lo, v19, v11, vcc_lo
	v_add_co_u32 v9, vcc_lo, v18, v12
	s_wait_alu 0xfffd
	v_add_co_ci_u32_e32 v10, vcc_lo, v19, v13, vcc_lo
	v_add_co_u32 v11, vcc_lo, v18, v14
	v_lshlrev_b64_e32 v[13:14], 3, v[5:6]
	v_add_nc_u32_e32 v5, s7, v5
	s_wait_alu 0xfffd
	v_add_co_ci_u32_e32 v12, vcc_lo, v19, v15, vcc_lo
	v_add_co_u32 v15, vcc_lo, v18, v16
	s_delay_alu instid0(VALU_DEP_3)
	v_lshlrev_b64_e32 v[5:6], 3, v[5:6]
	s_wait_alu 0xfffd
	v_add_co_ci_u32_e32 v16, vcc_lo, v19, v17, vcc_lo
	v_add_co_u32 v13, vcc_lo, v18, v13
	s_wait_alu 0xfffd
	v_add_co_ci_u32_e32 v14, vcc_lo, v19, v14, vcc_lo
	v_add_co_u32 v5, vcc_lo, v18, v5
	s_wait_alu 0xfffd
	v_add_co_ci_u32_e32 v6, vcc_lo, v19, v6, vcc_lo
	s_clause 0x6
	global_load_b64 v[3:4], v[3:4], off
	global_load_b64 v[7:8], v[7:8], off
	;; [unrolled: 1-line block ×7, first 2 shown]
	v_mul_u32_u24_e32 v17, 0x190, v1
	v_lshlrev_b32_e32 v18, 3, v2
	s_mov_b32 s7, s15
	s_delay_alu instid0(VALU_DEP_1) | instskip(NEXT) | instid1(VALU_DEP_1)
	v_add3_u32 v17, 0, v17, v18
	v_add_nc_u32_e32 v18, 0xc00, v17
	v_add_nc_u32_e32 v19, 0x1800, v17
	s_wait_loadcnt 0x5
	ds_store_2addr_b64 v17, v[3:4], v[7:8] offset1:200
	s_wait_loadcnt 0x3
	ds_store_2addr_b64 v18, v[9:10], v[11:12] offset0:16 offset1:216
	s_wait_loadcnt 0x1
	ds_store_2addr_b64 v19, v[15:16], v[13:14] offset0:32 offset1:232
	s_wait_loadcnt 0x0
	ds_store_b64 v17, v[5:6] offset:9600
.LBB0_2:
	s_load_b64 s[20:21], s[20:21], 0x0
	s_and_not1_b32 vcc_lo, exec_lo, s7
	s_wait_alu 0xfffe
	s_cbranch_vccnz .LBB0_7
; %bb.3:
	v_add_nc_u32_e32 v3, s6, v1
	s_mov_b32 s7, exec_lo
	s_delay_alu instid0(VALU_DEP_1)
	v_cmpx_gt_u32_e64 s12, v3
	s_cbranch_execz .LBB0_6
; %bb.4:
	v_mad_co_u64_u32 v[4:5], null, s16, v2, 0
	v_mul_u32_u24_e32 v7, 0x190, v1
	v_mul_lo_u32 v1, v1, s18
	s_mov_b32 s11, 0
	s_delay_alu instid0(VALU_DEP_3) | instskip(SKIP_4) | instid1(VALU_DEP_2)
	v_mad_co_u64_u32 v[5:6], null, s17, v2, v[5:6]
	s_lshl_b64 s[16:17], s[24:25], 3
	v_lshlrev_b32_e32 v2, 3, v2
	s_wait_alu 0xfffe
	s_add_nc_u64 s[16:17], s[22:23], s[16:17]
	v_lshlrev_b64_e32 v[5:6], 3, v[4:5]
	s_delay_alu instid0(VALU_DEP_2) | instskip(SKIP_2) | instid1(VALU_DEP_3)
	v_add3_u32 v4, v7, v2, 0
	v_mov_b32_e32 v2, 0
	s_wait_alu 0xfffe
	v_add_co_u32 v5, vcc_lo, s16, v5
	s_wait_alu 0xfffd
	v_add_co_ci_u32_e32 v6, vcc_lo, s17, v6, vcc_lo
	s_lshl_b32 s16, s18, 2
.LBB0_5:                                ; =>This Inner Loop Header: Depth=1
	v_lshlrev_b64_e32 v[7:8], 3, v[1:2]
	v_add_nc_u32_e32 v3, 4, v3
	s_wait_alu 0xfffe
	v_add_nc_u32_e32 v1, s16, v1
	s_delay_alu instid0(VALU_DEP_3)
	v_add_co_u32 v7, vcc_lo, v5, v7
	s_wait_alu 0xfffd
	v_add_co_ci_u32_e32 v8, vcc_lo, v6, v8, vcc_lo
	v_cmp_le_u32_e32 vcc_lo, s12, v3
	global_load_b64 v[7:8], v[7:8], off
	s_or_b32 s11, vcc_lo, s11
	s_wait_loadcnt 0x0
	ds_store_b64 v4, v[7:8]
	v_add_nc_u32_e32 v4, 0x640, v4
	s_and_not1_b32 exec_lo, exec_lo, s11
	s_cbranch_execnz .LBB0_5
.LBB0_6:
	s_wait_alu 0xfffe
	s_or_b32 exec_lo, exec_lo, s7
.LBB0_7:
	v_and_b32_e32 v1, 0xffff, v0
	v_mul_hi_u32 v3, 0x24924925, v0
	global_wb scope:SCOPE_SE
	s_wait_dscnt 0x0
	s_wait_kmcnt 0x0
	s_barrier_signal -1
	s_barrier_wait -1
	v_mul_u32_u24_e32 v1, 0x2493, v1
	global_inv scope:SCOPE_SE
	s_load_b64 s[0:1], s[0:1], 0x60
	s_and_not1_b32 vcc_lo, exec_lo, s3
	v_mul_u32_u24_e32 v3, 7, v3
	v_lshrrev_b32_e32 v1, 16, v1
	s_delay_alu instid0(VALU_DEP_2) | instskip(NEXT) | instid1(VALU_DEP_2)
	v_sub_nc_u32_e32 v16, v0, v3
	v_add_nc_u32_e32 v1, s6, v1
	s_delay_alu instid0(VALU_DEP_2) | instskip(NEXT) | instid1(VALU_DEP_2)
	v_lshlrev_b32_e32 v14, 3, v16
	v_lshrrev_b32_e32 v2, 2, v1
	v_mul_u32_u24_e32 v17, 6, v16
	s_delay_alu instid0(VALU_DEP_2) | instskip(NEXT) | instid1(VALU_DEP_1)
	v_mul_hi_u32 v2, 0x24924925, v2
	v_mul_lo_u32 v2, v2, 28
	s_delay_alu instid0(VALU_DEP_1) | instskip(NEXT) | instid1(VALU_DEP_1)
	v_sub_nc_u32_e32 v1, v1, v2
	v_mul_u32_u24_e32 v1, 50, v1
	s_delay_alu instid0(VALU_DEP_1) | instskip(NEXT) | instid1(VALU_DEP_1)
	v_lshlrev_b32_e32 v15, 3, v1
	v_add3_u32 v1, 0, v14, v15
	ds_load_2addr_b64 v[2:5], v1 offset0:7 offset1:14
	ds_load_2addr_b64 v[6:9], v1 offset0:35 offset1:42
	;; [unrolled: 1-line block ×3, first 2 shown]
	v_lshlrev_b32_e32 v17, 3, v17
	v_mad_u32_u24 v16, v16, 48, v1
	s_wait_dscnt 0x1
	v_dual_add_f32 v18, v2, v8 :: v_dual_add_f32 v19, v3, v9
	v_sub_f32_e32 v2, v2, v8
	v_add3_u32 v29, 0, v15, v14
	v_dual_sub_f32 v3, v3, v9 :: v_dual_add_f32 v8, v4, v6
	v_dual_add_f32 v9, v5, v7 :: v_dual_sub_f32 v4, v4, v6
	ds_load_b64 v[14:15], v29
	s_wait_dscnt 0x1
	v_dual_sub_f32 v5, v5, v7 :: v_dual_add_f32 v6, v10, v12
	v_dual_add_f32 v7, v11, v13 :: v_dual_sub_f32 v20, v8, v18
	v_dual_sub_f32 v10, v12, v10 :: v_dual_sub_f32 v11, v13, v11
	v_add_f32_e32 v12, v8, v18
	s_delay_alu instid0(VALU_DEP_4) | instskip(SKIP_1) | instid1(VALU_DEP_4)
	v_dual_sub_f32 v18, v18, v6 :: v_dual_add_f32 v13, v9, v19
	v_dual_sub_f32 v8, v6, v8 :: v_dual_sub_f32 v21, v9, v19
	v_dual_add_f32 v22, v10, v4 :: v_dual_sub_f32 v19, v19, v7
	v_dual_sub_f32 v24, v10, v4 :: v_dual_sub_f32 v9, v7, v9
	v_dual_sub_f32 v10, v2, v10 :: v_dual_add_f32 v23, v11, v5
	v_dual_sub_f32 v4, v4, v2 :: v_dual_sub_f32 v25, v11, v5
	v_dual_add_f32 v6, v6, v12 :: v_dual_add_f32 v7, v7, v13
	v_dual_sub_f32 v11, v3, v11 :: v_dual_add_f32 v12, v22, v2
	v_dual_sub_f32 v5, v5, v3 :: v_dual_mul_f32 v18, 0x3f4a47b2, v18
	v_dual_add_f32 v13, v23, v3 :: v_dual_mul_f32 v24, 0x3f08b237, v24
	s_wait_dscnt 0x0
	v_dual_mul_f32 v19, 0x3f4a47b2, v19 :: v_dual_add_f32 v2, v6, v14
	v_dual_mul_f32 v22, 0x3d64c772, v8 :: v_dual_mul_f32 v23, 0x3d64c772, v9
	v_fmamk_f32 v8, v8, 0x3d64c772, v18
	v_mul_f32_e32 v25, 0x3f08b237, v25
	v_dual_add_f32 v3, v7, v15 :: v_dual_mul_f32 v26, 0xbf5ff5aa, v4
	v_mul_f32_e32 v27, 0xbf5ff5aa, v5
	v_fma_f32 v14, 0x3f3bfb3b, v20, -v22
	v_fma_f32 v15, 0x3f3bfb3b, v21, -v23
	;; [unrolled: 1-line block ×3, first 2 shown]
	v_fmamk_f32 v20, v10, 0xbeae86e6, v24
	v_fma_f32 v22, 0xbf5ff5aa, v4, -v24
	v_mov_b32_e32 v4, v2
	v_fma_f32 v23, 0xbf5ff5aa, v5, -v25
	s_delay_alu instid0(VALU_DEP_4) | instskip(SKIP_1) | instid1(VALU_DEP_4)
	v_dual_mov_b32 v5, v3 :: v_dual_fmac_f32 v20, 0xbee1c552, v12
	v_fma_f32 v24, 0x3eae86e6, v10, -v26
	v_fmac_f32_e32 v4, 0xbf955555, v6
	v_fmac_f32_e32 v22, 0xbee1c552, v12
	s_delay_alu instid0(VALU_DEP_4)
	v_fmac_f32_e32 v5, 0xbf955555, v7
	v_fmamk_f32 v9, v9, 0x3d64c772, v19
	v_fma_f32 v19, 0xbf3bfb3b, v21, -v19
	v_dual_add_f32 v26, v8, v4 :: v_dual_fmamk_f32 v21, v11, 0xbeae86e6, v25
	v_add_f32_e32 v10, v14, v4
	v_fma_f32 v25, 0x3eae86e6, v11, -v27
	v_dual_fmac_f32 v23, 0xbee1c552, v13 :: v_dual_fmac_f32 v24, 0xbee1c552, v12
	s_delay_alu instid0(VALU_DEP_4) | instskip(SKIP_1) | instid1(VALU_DEP_4)
	v_fmac_f32_e32 v21, 0xbee1c552, v13
	v_add_f32_e32 v27, v9, v5
	v_dual_fmac_f32 v25, 0xbee1c552, v13 :: v_dual_add_f32 v12, v18, v4
	v_add_f32_e32 v13, v19, v5
	v_dual_add_f32 v11, v15, v5 :: v_dual_sub_f32 v8, v10, v23
	s_delay_alu instid0(VALU_DEP_4) | instskip(NEXT) | instid1(VALU_DEP_4)
	v_dual_add_f32 v4, v26, v21 :: v_dual_sub_f32 v5, v27, v20
	v_add_f32_e32 v6, v25, v12
	s_delay_alu instid0(VALU_DEP_4) | instskip(NEXT) | instid1(VALU_DEP_4)
	v_dual_sub_f32 v7, v13, v24 :: v_dual_add_f32 v10, v23, v10
	v_dual_add_f32 v9, v22, v11 :: v_dual_sub_f32 v12, v12, v25
	v_dual_sub_f32 v11, v11, v22 :: v_dual_sub_f32 v14, v26, v21
	v_add_f32_e32 v13, v24, v13
	v_add_f32_e32 v15, v20, v27
	global_wb scope:SCOPE_SE
	s_wait_kmcnt 0x0
	s_barrier_signal -1
	s_barrier_wait -1
	global_inv scope:SCOPE_SE
	ds_store_b64 v16, v[2:3]
	ds_store_2addr_b64 v16, v[4:5], v[6:7] offset0:1 offset1:2
	ds_store_2addr_b64 v16, v[8:9], v[10:11] offset0:3 offset1:4
	;; [unrolled: 1-line block ×3, first 2 shown]
	global_wb scope:SCOPE_SE
	s_wait_dscnt 0x0
	s_barrier_signal -1
	s_barrier_wait -1
	global_inv scope:SCOPE_SE
	s_clause 0x2
	global_load_b128 v[2:5], v17, s[4:5]
	global_load_b128 v[9:12], v17, s[4:5] offset:16
	global_load_b128 v[13:16], v17, s[4:5] offset:32
	ds_load_2addr_b64 v[17:20], v1 offset0:7 offset1:14
	ds_load_2addr_b64 v[25:28], v1 offset0:35 offset1:42
	;; [unrolled: 1-line block ×3, first 2 shown]
	v_mul_hi_u32 v7, 0x924924a, v0
	ds_load_b64 v[29:30], v29
	s_mov_b32 s5, 0
	s_mul_i32 s4, s13, s10
	s_mov_b32 s7, s5
	s_mul_u64 s[10:11], s[20:21], s[14:15]
	s_wait_alu 0xfffe
	s_mul_u64 s[14:15], s[8:9], s[6:7]
	global_wb scope:SCOPE_SE
	s_wait_loadcnt_dscnt 0x0
	v_mul_u32_u24_e32 v6, 28, v7
	s_add_nc_u64 s[14:15], s[14:15], s[4:5]
	s_barrier_signal -1
	s_add_nc_u64 s[10:11], s[14:15], s[10:11]
	s_barrier_wait -1
	v_sub_nc_u32_e32 v8, v0, v6
	global_inv scope:SCOPE_SE
	v_dual_mul_f32 v31, v5, v20 :: v_dual_mul_f32 v6, v3, v18
	v_dual_mul_f32 v34, v14, v26 :: v_dual_mul_f32 v3, v3, v17
	;; [unrolled: 1-line block ×3, first 2 shown]
	v_mul_f32_e32 v32, v10, v22
	v_dual_mul_f32 v10, v10, v21 :: v_dual_mul_f32 v35, v16, v28
	s_delay_alu instid0(VALU_DEP_4)
	v_dual_fmac_f32 v31, v4, v19 :: v_dual_fmac_f32 v34, v13, v25
	v_mul_f32_e32 v16, v16, v27
	v_dual_mul_f32 v33, v12, v24 :: v_dual_fmac_f32 v6, v2, v17
	v_mul_f32_e32 v12, v12, v23
	v_fma_f32 v2, v2, v18, -v3
	v_fma_f32 v3, v4, v20, -v5
	v_fmac_f32_e32 v32, v9, v21
	v_fma_f32 v4, v9, v22, -v10
	v_fma_f32 v5, v15, v28, -v16
	v_fmac_f32_e32 v35, v15, v27
	v_fma_f32 v10, v13, v26, -v14
	v_fmac_f32_e32 v33, v11, v23
	v_fma_f32 v9, v11, v24, -v12
	v_add_f32_e32 v12, v2, v5
	v_sub_f32_e32 v2, v2, v5
	v_dual_add_f32 v11, v6, v35 :: v_dual_sub_f32 v14, v31, v34
	v_dual_sub_f32 v6, v6, v35 :: v_dual_add_f32 v13, v3, v10
	v_add_f32_e32 v5, v31, v34
	v_dual_sub_f32 v3, v3, v10 :: v_dual_add_f32 v10, v32, v33
	v_dual_add_f32 v15, v4, v9 :: v_dual_sub_f32 v16, v33, v32
	v_sub_f32_e32 v4, v9, v4
	s_delay_alu instid0(VALU_DEP_4)
	v_add_f32_e32 v9, v5, v11
	v_add_f32_e32 v17, v13, v12
	v_dual_sub_f32 v18, v5, v11 :: v_dual_sub_f32 v5, v10, v5
	v_dual_sub_f32 v19, v13, v12 :: v_dual_sub_f32 v22, v16, v14
	;; [unrolled: 1-line block ×3, first 2 shown]
	v_add_f32_e32 v20, v16, v14
	v_add_f32_e32 v21, v4, v3
	v_dual_sub_f32 v23, v4, v3 :: v_dual_sub_f32 v14, v14, v6
	v_sub_f32_e32 v4, v2, v4
	v_dual_sub_f32 v24, v3, v2 :: v_dual_add_f32 v9, v10, v9
	v_add_f32_e32 v10, v15, v17
	v_dual_sub_f32 v13, v15, v13 :: v_dual_sub_f32 v16, v6, v16
	v_dual_add_f32 v6, v20, v6 :: v_dual_mul_f32 v11, 0x3f4a47b2, v11
	v_dual_add_f32 v15, v21, v2 :: v_dual_mul_f32 v12, 0x3f4a47b2, v12
	s_delay_alu instid0(VALU_DEP_4)
	v_add_f32_e32 v3, v10, v30
	v_dual_mul_f32 v21, 0x3f08b237, v22 :: v_dual_mul_f32 v22, 0x3f08b237, v23
	v_dual_mul_f32 v23, 0xbf5ff5aa, v14 :: v_dual_add_f32 v2, v9, v29
	v_mul_f32_e32 v17, 0x3d64c772, v5
	v_dual_mul_f32 v20, 0x3d64c772, v13 :: v_dual_fmamk_f32 v5, v5, 0x3d64c772, v11
	v_fma_f32 v11, 0xbf3bfb3b, v18, -v11
	v_fma_f32 v14, 0xbf5ff5aa, v14, -v21
	s_delay_alu instid0(VALU_DEP_4)
	v_fma_f32 v17, 0x3f3bfb3b, v18, -v17
	v_fmamk_f32 v18, v16, 0xbeae86e6, v21
	v_fma_f32 v16, 0x3eae86e6, v16, -v23
	v_mov_b32_e32 v23, v3
	v_fma_f32 v20, 0x3f3bfb3b, v19, -v20
	v_fma_f32 v21, 0xbf5ff5aa, v24, -v22
	v_fmac_f32_e32 v14, 0xbee1c552, v6
	v_fmac_f32_e32 v16, 0xbee1c552, v6
	;; [unrolled: 1-line block ×3, first 2 shown]
	v_fmamk_f32 v13, v13, 0x3d64c772, v12
	v_fma_f32 v12, 0xbf3bfb3b, v19, -v12
	v_fmamk_f32 v19, v4, 0xbeae86e6, v22
	v_fmac_f32_e32 v18, 0xbee1c552, v6
	v_dual_add_f32 v20, v20, v23 :: v_dual_mul_f32 v25, 0xbf5ff5aa, v24
	v_add_f32_e32 v24, v13, v23
	v_fmac_f32_e32 v21, 0xbee1c552, v15
	s_delay_alu instid0(VALU_DEP_3) | instskip(SKIP_1) | instid1(VALU_DEP_1)
	v_fma_f32 v22, 0x3eae86e6, v4, -v25
	v_mov_b32_e32 v4, v2
	v_fmac_f32_e32 v4, 0xbf955555, v9
	s_delay_alu instid0(VALU_DEP_1) | instskip(SKIP_4) | instid1(VALU_DEP_3)
	v_add_f32_e32 v13, v17, v4
	v_dual_add_f32 v17, v12, v23 :: v_dual_add_f32 v6, v5, v4
	v_fmac_f32_e32 v19, 0xbee1c552, v15
	v_dual_fmac_f32 v22, 0xbee1c552, v15 :: v_dual_add_f32 v15, v11, v4
	v_dual_sub_f32 v5, v24, v18 :: v_dual_add_f32 v12, v14, v20
	v_add_f32_e32 v4, v19, v6
	s_delay_alu instid0(VALU_DEP_3)
	v_dual_sub_f32 v10, v17, v16 :: v_dual_add_f32 v9, v22, v15
	v_dual_sub_f32 v11, v13, v21 :: v_dual_sub_f32 v14, v20, v14
	v_dual_add_f32 v13, v21, v13 :: v_dual_add_f32 v18, v18, v24
	v_dual_sub_f32 v15, v15, v22 :: v_dual_add_f32 v16, v16, v17
	v_sub_f32_e32 v17, v6, v19
	ds_store_2addr_b64 v1, v[2:3], v[4:5] offset1:7
	ds_store_2addr_b64 v1, v[9:10], v[11:12] offset0:14 offset1:21
	ds_store_2addr_b64 v1, v[13:14], v[15:16] offset0:28 offset1:35
	ds_store_b64 v1, v[17:18] offset:336
	global_wb scope:SCOPE_SE
	s_wait_dscnt 0x0
	s_barrier_signal -1
	s_barrier_wait -1
	global_inv scope:SCOPE_SE
	s_cbranch_vccnz .LBB0_11
; %bb.8:
	v_mad_co_u64_u32 v[4:5], null, s8, v8, 0
	v_mul_lo_u32 v1, v7, s2
	s_mul_i32 s4, s2, 7
	s_lshl_b64 s[14:15], s[10:11], 3
	s_mov_b32 s3, 0
	s_add_nc_u64 s[14:15], s[0:1], s[14:15]
	s_mov_b32 s7, exec_lo
	s_delay_alu instid0(VALU_DEP_2) | instskip(NEXT) | instid1(VALU_DEP_1)
	v_dual_mov_b32 v3, v5 :: v_dual_mov_b32 v2, 0
	v_mad_co_u64_u32 v[5:6], null, s9, v8, v[3:4]
	v_mul_i32_i24_e32 v3, 0x190, v8
	v_lshlrev_b32_e32 v6, 3, v7
	s_delay_alu instid0(VALU_DEP_4) | instskip(SKIP_1) | instid1(VALU_DEP_3)
	v_lshlrev_b64_e32 v[19:20], 3, v[1:2]
	v_add_nc_u32_e32 v1, s4, v1
	v_add3_u32 v3, 0, v3, v6
	v_lshlrev_b64_e32 v[4:5], 3, v[4:5]
	s_delay_alu instid0(VALU_DEP_3)
	v_lshlrev_b64_e32 v[21:22], 3, v[1:2]
	v_add_nc_u32_e32 v1, s4, v1
	ds_load_2addr_b64 v[11:14], v3 offset1:7
	ds_load_2addr_b64 v[15:18], v3 offset0:14 offset1:21
	v_add_co_u32 v9, vcc_lo, s14, v4
	s_wait_alu 0xfffd
	v_add_co_ci_u32_e32 v10, vcc_lo, s15, v5, vcc_lo
	v_lshlrev_b64_e32 v[23:24], 3, v[1:2]
	v_add_nc_u32_e32 v1, s4, v1
	v_add_co_u32 v19, vcc_lo, v9, v19
	s_wait_alu 0xfffd
	v_add_co_ci_u32_e32 v20, vcc_lo, v10, v20, vcc_lo
	s_delay_alu instid0(VALU_DEP_3)
	v_lshlrev_b64_e32 v[4:5], 3, v[1:2]
	v_add_co_u32 v21, vcc_lo, v9, v21
	s_wait_alu 0xfffd
	v_add_co_ci_u32_e32 v22, vcc_lo, v10, v22, vcc_lo
	v_add_co_u32 v23, vcc_lo, v9, v23
	s_wait_alu 0xfffd
	v_add_co_ci_u32_e32 v24, vcc_lo, v10, v24, vcc_lo
	v_add_nc_u32_e32 v1, s4, v1
	v_add_co_u32 v4, vcc_lo, v9, v4
	s_wait_alu 0xfffd
	v_add_co_ci_u32_e32 v5, vcc_lo, v10, v5, vcc_lo
	s_wait_dscnt 0x1
	s_clause 0x1
	global_store_b64 v[19:20], v[11:12], off
	global_store_b64 v[21:22], v[13:14], off
	v_lshlrev_b64_e32 v[19:20], 3, v[1:2]
	v_add_nc_u32_e32 v1, s4, v1
	ds_load_2addr_b64 v[11:14], v3 offset0:28 offset1:35
	s_wait_dscnt 0x1
	s_clause 0x1
	global_store_b64 v[23:24], v[15:16], off
	global_store_b64 v[4:5], v[17:18], off
	ds_load_b64 v[4:5], v3 offset:336
	v_lshlrev_b64_e32 v[15:16], 3, v[1:2]
	v_add_nc_u32_e32 v1, s4, v1
	v_add_co_u32 v17, vcc_lo, v9, v19
	s_wait_alu 0xfffd
	v_add_co_ci_u32_e32 v18, vcc_lo, v10, v20, vcc_lo
	s_delay_alu instid0(VALU_DEP_3) | instskip(SKIP_3) | instid1(VALU_DEP_3)
	v_lshlrev_b64_e32 v[19:20], 3, v[1:2]
	v_add_co_u32 v15, vcc_lo, v9, v15
	s_wait_alu 0xfffd
	v_add_co_ci_u32_e32 v16, vcc_lo, v10, v16, vcc_lo
	v_add_co_u32 v19, vcc_lo, v9, v19
	s_wait_alu 0xfffd
	v_add_co_ci_u32_e32 v20, vcc_lo, v10, v20, vcc_lo
	s_wait_dscnt 0x1
	s_clause 0x1
	global_store_b64 v[17:18], v[11:12], off
	global_store_b64 v[15:16], v[13:14], off
	s_wait_dscnt 0x0
	global_store_b64 v[19:20], v[4:5], off
                                        ; implicit-def: $vgpr4
                                        ; implicit-def: $vgpr5_vgpr6
	v_cmpx_gt_u32_e32 28, v0
	s_cbranch_execz .LBB0_10
; %bb.9:
	ds_load_b64 v[3:4], v3 offset:392
	v_add_nc_u32_e32 v1, s4, v1
	s_mov_b32 s5, exec_lo
	s_delay_alu instid0(VALU_DEP_1) | instskip(NEXT) | instid1(VALU_DEP_1)
	v_lshlrev_b64_e32 v[1:2], 3, v[1:2]
	v_add_co_u32 v5, vcc_lo, v9, v1
	s_wait_alu 0xfffd
	s_delay_alu instid0(VALU_DEP_2)
	v_add_co_ci_u32_e32 v6, vcc_lo, v10, v2, vcc_lo
	s_wait_dscnt 0x0
	global_store_b32 v[5:6], v3, off
.LBB0_10:
	s_wait_alu 0xfffe
	s_or_b32 exec_lo, exec_lo, s7
	s_delay_alu instid0(SALU_CYCLE_1)
	s_and_b32 vcc_lo, exec_lo, s3
	s_wait_alu 0xfffe
	s_cbranch_vccnz .LBB0_12
	s_branch .LBB0_17
.LBB0_11:
                                        ; implicit-def: $vgpr4
                                        ; implicit-def: $vgpr5_vgpr6
	s_cbranch_execz .LBB0_17
.LBB0_12:
	v_add_nc_u32_e32 v1, s6, v8
	s_mov_b32 s3, exec_lo
                                        ; implicit-def: $vgpr4
                                        ; implicit-def: $vgpr5_vgpr6
	s_delay_alu instid0(VALU_DEP_1)
	v_cmpx_gt_u32_e64 s12, v1
	s_cbranch_execz .LBB0_16
; %bb.13:
	v_mad_co_u64_u32 v[4:5], null, s8, v8, 0
	v_mov_b32_e32 v2, 0
	v_mul_lo_u32 v1, v7, s2
	s_mul_i32 s2, s2, 7
	s_lshl_b64 s[6:7], s[10:11], 3
	s_wait_alu 0xfffe
	s_add_nc_u64 s[0:1], s[0:1], s[6:7]
	s_delay_alu instid0(VALU_DEP_3) | instskip(NEXT) | instid1(VALU_DEP_2)
	v_mov_b32_e32 v3, v5
	v_lshlrev_b64_e32 v[17:18], 3, v[1:2]
	v_add_nc_u32_e32 v1, s2, v1
	s_delay_alu instid0(VALU_DEP_3) | instskip(SKIP_1) | instid1(VALU_DEP_3)
	v_mad_co_u64_u32 v[5:6], null, s9, v8, v[3:4]
	v_mad_i32_i24 v3, 0x190, v8, 0
	v_lshlrev_b64_e32 v[19:20], 3, v[1:2]
	v_add_nc_u32_e32 v1, s2, v1
	s_delay_alu instid0(VALU_DEP_3)
	v_lshl_add_u32 v6, v7, 3, v3
	v_lshlrev_b64_e32 v[4:5], 3, v[4:5]
	ds_load_2addr_b64 v[9:12], v6 offset1:7
	ds_load_2addr_b64 v[13:16], v6 offset0:14 offset1:21
	v_lshlrev_b64_e32 v[21:22], 3, v[1:2]
	v_add_co_u32 v7, vcc_lo, s0, v4
	s_wait_alu 0xfffd
	v_add_co_ci_u32_e32 v8, vcc_lo, s1, v5, vcc_lo
	v_add_nc_u32_e32 v1, s2, v1
	s_delay_alu instid0(VALU_DEP_3) | instskip(SKIP_1) | instid1(VALU_DEP_3)
	v_add_co_u32 v4, vcc_lo, v7, v17
	s_wait_alu 0xfffd
	v_add_co_ci_u32_e32 v5, vcc_lo, v8, v18, vcc_lo
	s_delay_alu instid0(VALU_DEP_3)
	v_lshlrev_b64_e32 v[23:24], 3, v[1:2]
	v_add_co_u32 v17, vcc_lo, v7, v19
	s_wait_alu 0xfffd
	v_add_co_ci_u32_e32 v18, vcc_lo, v8, v20, vcc_lo
	v_add_nc_u32_e32 v1, s2, v1
	v_add_co_u32 v19, vcc_lo, v7, v21
	s_wait_alu 0xfffd
	v_add_co_ci_u32_e32 v20, vcc_lo, v8, v22, vcc_lo
	s_wait_dscnt 0x1
	global_store_b64 v[4:5], v[9:10], off
	v_add_co_u32 v4, vcc_lo, v7, v23
	s_wait_alu 0xfffd
	v_add_co_ci_u32_e32 v5, vcc_lo, v8, v24, vcc_lo
	v_lshlrev_b64_e32 v[21:22], 3, v[1:2]
	v_add_nc_u32_e32 v1, s2, v1
	global_store_b64 v[17:18], v[11:12], off
	s_wait_dscnt 0x0
	s_clause 0x1
	global_store_b64 v[19:20], v[13:14], off
	global_store_b64 v[4:5], v[15:16], off
	ds_load_2addr_b64 v[9:12], v6 offset0:28 offset1:35
	ds_load_b64 v[13:14], v6 offset:336
	s_lshr_b32 s0, s12, 2
	v_lshlrev_b64_e32 v[4:5], 3, v[1:2]
	v_add_nc_u32_e32 v1, s2, v1
	v_add_co_u32 v15, vcc_lo, v7, v21
	s_wait_alu 0xfffd
	v_add_co_ci_u32_e32 v16, vcc_lo, v8, v22, vcc_lo
	s_delay_alu instid0(VALU_DEP_3)
	v_lshlrev_b64_e32 v[17:18], 3, v[1:2]
	s_wait_alu 0xfffe
	s_mul_hi_u32 s0, s0, 0x24924925
	v_add_co_u32 v4, vcc_lo, v7, v4
	s_wait_alu 0xfffe
	s_mul_i32 s0, s0, 28
	s_wait_alu 0xfffd
	v_add_co_ci_u32_e32 v5, vcc_lo, v8, v5, vcc_lo
	v_add_co_u32 v17, vcc_lo, v7, v17
	s_wait_alu 0xfffe
	s_sub_co_i32 s0, s12, s0
	s_wait_alu 0xfffd
	v_add_co_ci_u32_e32 v18, vcc_lo, v8, v18, vcc_lo
	s_wait_alu 0xfffe
	v_cmp_gt_u32_e32 vcc_lo, s0, v0
	s_mov_b32 s1, s5
	s_wait_dscnt 0x1
	s_clause 0x1
	global_store_b64 v[15:16], v[9:10], off
	global_store_b64 v[4:5], v[11:12], off
	s_wait_dscnt 0x0
	global_store_b64 v[17:18], v[13:14], off
                                        ; implicit-def: $vgpr4
                                        ; implicit-def: $vgpr5_vgpr6
	s_and_saveexec_b32 s0, vcc_lo
	s_cbranch_execz .LBB0_15
; %bb.14:
	ds_load_b64 v[3:4], v3 offset:392
	v_add_nc_u32_e32 v1, s2, v1
	s_or_b32 s1, s5, exec_lo
	s_delay_alu instid0(VALU_DEP_1) | instskip(NEXT) | instid1(VALU_DEP_1)
	v_lshlrev_b64_e32 v[0:1], 3, v[1:2]
	v_add_co_u32 v5, vcc_lo, v7, v0
	s_wait_alu 0xfffd
	s_delay_alu instid0(VALU_DEP_2)
	v_add_co_ci_u32_e32 v6, vcc_lo, v8, v1, vcc_lo
	s_wait_dscnt 0x0
	global_store_b32 v[5:6], v3, off
.LBB0_15:
	s_wait_alu 0xfffe
	s_or_b32 exec_lo, exec_lo, s0
	s_delay_alu instid0(SALU_CYCLE_1)
	s_and_not1_b32 s0, s5, exec_lo
	s_and_b32 s1, s1, exec_lo
	s_wait_alu 0xfffe
	s_or_b32 s5, s0, s1
.LBB0_16:
	s_wait_alu 0xfffe
	s_or_b32 exec_lo, exec_lo, s3
.LBB0_17:
	s_and_saveexec_b32 s0, s5
	s_cbranch_execnz .LBB0_19
; %bb.18:
	s_nop 0
	s_sendmsg sendmsg(MSG_DEALLOC_VGPRS)
	s_endpgm
.LBB0_19:
	global_store_b32 v[5:6], v4, off offset:4
	s_nop 0
	s_sendmsg sendmsg(MSG_DEALLOC_VGPRS)
	s_endpgm
	.section	.rodata,"a",@progbits
	.p2align	6, 0x0
	.amdhsa_kernel fft_rtc_back_len49_factors_7_7_wgs_196_tpt_7_sp_op_CI_CI_sbrc_erc_z_xy_unaligned
		.amdhsa_group_segment_fixed_size 0
		.amdhsa_private_segment_fixed_size 0
		.amdhsa_kernarg_size 104
		.amdhsa_user_sgpr_count 2
		.amdhsa_user_sgpr_dispatch_ptr 0
		.amdhsa_user_sgpr_queue_ptr 0
		.amdhsa_user_sgpr_kernarg_segment_ptr 1
		.amdhsa_user_sgpr_dispatch_id 0
		.amdhsa_user_sgpr_private_segment_size 0
		.amdhsa_wavefront_size32 1
		.amdhsa_uses_dynamic_stack 0
		.amdhsa_enable_private_segment 0
		.amdhsa_system_sgpr_workgroup_id_x 1
		.amdhsa_system_sgpr_workgroup_id_y 0
		.amdhsa_system_sgpr_workgroup_id_z 0
		.amdhsa_system_sgpr_workgroup_info 0
		.amdhsa_system_vgpr_workitem_id 0
		.amdhsa_next_free_vgpr 36
		.amdhsa_next_free_sgpr 30
		.amdhsa_reserve_vcc 1
		.amdhsa_float_round_mode_32 0
		.amdhsa_float_round_mode_16_64 0
		.amdhsa_float_denorm_mode_32 3
		.amdhsa_float_denorm_mode_16_64 3
		.amdhsa_fp16_overflow 0
		.amdhsa_workgroup_processor_mode 1
		.amdhsa_memory_ordered 1
		.amdhsa_forward_progress 0
		.amdhsa_round_robin_scheduling 0
		.amdhsa_exception_fp_ieee_invalid_op 0
		.amdhsa_exception_fp_denorm_src 0
		.amdhsa_exception_fp_ieee_div_zero 0
		.amdhsa_exception_fp_ieee_overflow 0
		.amdhsa_exception_fp_ieee_underflow 0
		.amdhsa_exception_fp_ieee_inexact 0
		.amdhsa_exception_int_div_zero 0
	.end_amdhsa_kernel
	.text
.Lfunc_end0:
	.size	fft_rtc_back_len49_factors_7_7_wgs_196_tpt_7_sp_op_CI_CI_sbrc_erc_z_xy_unaligned, .Lfunc_end0-fft_rtc_back_len49_factors_7_7_wgs_196_tpt_7_sp_op_CI_CI_sbrc_erc_z_xy_unaligned
                                        ; -- End function
	.section	.AMDGPU.csdata,"",@progbits
; Kernel info:
; codeLenInByte = 4016
; NumSgprs: 32
; NumVgprs: 36
; ScratchSize: 0
; MemoryBound: 0
; FloatMode: 240
; IeeeMode: 1
; LDSByteSize: 0 bytes/workgroup (compile time only)
; SGPRBlocks: 3
; VGPRBlocks: 4
; NumSGPRsForWavesPerEU: 32
; NumVGPRsForWavesPerEU: 36
; Occupancy: 16
; WaveLimiterHint : 1
; COMPUTE_PGM_RSRC2:SCRATCH_EN: 0
; COMPUTE_PGM_RSRC2:USER_SGPR: 2
; COMPUTE_PGM_RSRC2:TRAP_HANDLER: 0
; COMPUTE_PGM_RSRC2:TGID_X_EN: 1
; COMPUTE_PGM_RSRC2:TGID_Y_EN: 0
; COMPUTE_PGM_RSRC2:TGID_Z_EN: 0
; COMPUTE_PGM_RSRC2:TIDIG_COMP_CNT: 0
	.text
	.p2alignl 7, 3214868480
	.fill 96, 4, 3214868480
	.type	__hip_cuid_2a0f2a2de8e6c5a4,@object ; @__hip_cuid_2a0f2a2de8e6c5a4
	.section	.bss,"aw",@nobits
	.globl	__hip_cuid_2a0f2a2de8e6c5a4
__hip_cuid_2a0f2a2de8e6c5a4:
	.byte	0                               ; 0x0
	.size	__hip_cuid_2a0f2a2de8e6c5a4, 1

	.ident	"AMD clang version 19.0.0git (https://github.com/RadeonOpenCompute/llvm-project roc-6.4.0 25133 c7fe45cf4b819c5991fe208aaa96edf142730f1d)"
	.section	".note.GNU-stack","",@progbits
	.addrsig
	.addrsig_sym __hip_cuid_2a0f2a2de8e6c5a4
	.amdgpu_metadata
---
amdhsa.kernels:
  - .args:
      - .actual_access:  read_only
        .address_space:  global
        .offset:         0
        .size:           8
        .value_kind:     global_buffer
      - .offset:         8
        .size:           8
        .value_kind:     by_value
      - .actual_access:  read_only
        .address_space:  global
        .offset:         16
        .size:           8
        .value_kind:     global_buffer
      - .actual_access:  read_only
        .address_space:  global
        .offset:         24
        .size:           8
        .value_kind:     global_buffer
      - .actual_access:  read_only
        .address_space:  global
        .offset:         32
        .size:           8
        .value_kind:     global_buffer
      - .offset:         40
        .size:           8
        .value_kind:     by_value
      - .actual_access:  read_only
        .address_space:  global
        .offset:         48
        .size:           8
        .value_kind:     global_buffer
      - .actual_access:  read_only
        .address_space:  global
        .offset:         56
        .size:           8
        .value_kind:     global_buffer
      - .offset:         64
        .size:           4
        .value_kind:     by_value
      - .actual_access:  read_only
        .address_space:  global
        .offset:         72
        .size:           8
        .value_kind:     global_buffer
      - .actual_access:  read_only
        .address_space:  global
        .offset:         80
        .size:           8
        .value_kind:     global_buffer
      - .actual_access:  read_only
        .address_space:  global
        .offset:         88
        .size:           8
        .value_kind:     global_buffer
      - .actual_access:  write_only
        .address_space:  global
        .offset:         96
        .size:           8
        .value_kind:     global_buffer
    .group_segment_fixed_size: 0
    .kernarg_segment_align: 8
    .kernarg_segment_size: 104
    .language:       OpenCL C
    .language_version:
      - 2
      - 0
    .max_flat_workgroup_size: 196
    .name:           fft_rtc_back_len49_factors_7_7_wgs_196_tpt_7_sp_op_CI_CI_sbrc_erc_z_xy_unaligned
    .private_segment_fixed_size: 0
    .sgpr_count:     32
    .sgpr_spill_count: 0
    .symbol:         fft_rtc_back_len49_factors_7_7_wgs_196_tpt_7_sp_op_CI_CI_sbrc_erc_z_xy_unaligned.kd
    .uniform_work_group_size: 1
    .uses_dynamic_stack: false
    .vgpr_count:     36
    .vgpr_spill_count: 0
    .wavefront_size: 32
    .workgroup_processor_mode: 1
amdhsa.target:   amdgcn-amd-amdhsa--gfx1201
amdhsa.version:
  - 1
  - 2
...

	.end_amdgpu_metadata
